;; amdgpu-corpus repo=ROCm/rocFFT kind=compiled arch=gfx1030 opt=O3
	.text
	.amdgcn_target "amdgcn-amd-amdhsa--gfx1030"
	.amdhsa_code_object_version 6
	.protected	fft_rtc_fwd_len1296_factors_6_6_6_6_wgs_108_tpt_108_halfLds_dp_op_CI_CI_unitstride_sbrr_R2C_dirReg ; -- Begin function fft_rtc_fwd_len1296_factors_6_6_6_6_wgs_108_tpt_108_halfLds_dp_op_CI_CI_unitstride_sbrr_R2C_dirReg
	.globl	fft_rtc_fwd_len1296_factors_6_6_6_6_wgs_108_tpt_108_halfLds_dp_op_CI_CI_unitstride_sbrr_R2C_dirReg
	.p2align	8
	.type	fft_rtc_fwd_len1296_factors_6_6_6_6_wgs_108_tpt_108_halfLds_dp_op_CI_CI_unitstride_sbrr_R2C_dirReg,@function
fft_rtc_fwd_len1296_factors_6_6_6_6_wgs_108_tpt_108_halfLds_dp_op_CI_CI_unitstride_sbrr_R2C_dirReg: ; @fft_rtc_fwd_len1296_factors_6_6_6_6_wgs_108_tpt_108_halfLds_dp_op_CI_CI_unitstride_sbrr_R2C_dirReg
; %bb.0:
	s_clause 0x2
	s_load_dwordx4 s[12:15], s[4:5], 0x0
	s_load_dwordx4 s[8:11], s[4:5], 0x58
	;; [unrolled: 1-line block ×3, first 2 shown]
	v_mul_u32_u24_e32 v1, 0x25f, v0
	v_mov_b32_e32 v3, 0
	v_add_nc_u32_sdwa v5, s6, v1 dst_sel:DWORD dst_unused:UNUSED_PAD src0_sel:DWORD src1_sel:WORD_1
	v_mov_b32_e32 v1, 0
	v_mov_b32_e32 v6, v3
	v_mov_b32_e32 v2, 0
	s_waitcnt lgkmcnt(0)
	v_cmp_lt_u64_e64 s0, s[14:15], 2
	s_and_b32 vcc_lo, exec_lo, s0
	s_cbranch_vccnz .LBB0_8
; %bb.1:
	s_load_dwordx2 s[0:1], s[4:5], 0x10
	v_mov_b32_e32 v1, 0
	v_mov_b32_e32 v2, 0
	s_add_u32 s2, s18, 8
	s_addc_u32 s3, s19, 0
	s_add_u32 s6, s16, 8
	s_addc_u32 s7, s17, 0
	v_mov_b32_e32 v9, v2
	v_mov_b32_e32 v8, v1
	s_mov_b64 s[22:23], 1
	s_waitcnt lgkmcnt(0)
	s_add_u32 s20, s0, 8
	s_addc_u32 s21, s1, 0
.LBB0_2:                                ; =>This Inner Loop Header: Depth=1
	s_load_dwordx2 s[24:25], s[20:21], 0x0
                                        ; implicit-def: $vgpr12_vgpr13
	s_mov_b32 s0, exec_lo
	s_waitcnt lgkmcnt(0)
	v_or_b32_e32 v4, s25, v6
	v_cmpx_ne_u64_e32 0, v[3:4]
	s_xor_b32 s1, exec_lo, s0
	s_cbranch_execz .LBB0_4
; %bb.3:                                ;   in Loop: Header=BB0_2 Depth=1
	v_cvt_f32_u32_e32 v4, s24
	v_cvt_f32_u32_e32 v7, s25
	s_sub_u32 s0, 0, s24
	s_subb_u32 s26, 0, s25
	v_fmac_f32_e32 v4, 0x4f800000, v7
	v_rcp_f32_e32 v4, v4
	v_mul_f32_e32 v4, 0x5f7ffffc, v4
	v_mul_f32_e32 v7, 0x2f800000, v4
	v_trunc_f32_e32 v7, v7
	v_fmac_f32_e32 v4, 0xcf800000, v7
	v_cvt_u32_f32_e32 v7, v7
	v_cvt_u32_f32_e32 v4, v4
	v_mul_lo_u32 v10, s0, v7
	v_mul_hi_u32 v11, s0, v4
	v_mul_lo_u32 v12, s26, v4
	v_add_nc_u32_e32 v10, v11, v10
	v_mul_lo_u32 v11, s0, v4
	v_add_nc_u32_e32 v10, v10, v12
	v_mul_hi_u32 v12, v4, v11
	v_mul_lo_u32 v13, v4, v10
	v_mul_hi_u32 v14, v4, v10
	v_mul_hi_u32 v15, v7, v11
	v_mul_lo_u32 v11, v7, v11
	v_mul_hi_u32 v16, v7, v10
	v_mul_lo_u32 v10, v7, v10
	v_add_co_u32 v12, vcc_lo, v12, v13
	v_add_co_ci_u32_e32 v13, vcc_lo, 0, v14, vcc_lo
	v_add_co_u32 v11, vcc_lo, v12, v11
	v_add_co_ci_u32_e32 v11, vcc_lo, v13, v15, vcc_lo
	v_add_co_ci_u32_e32 v12, vcc_lo, 0, v16, vcc_lo
	v_add_co_u32 v10, vcc_lo, v11, v10
	v_add_co_ci_u32_e32 v11, vcc_lo, 0, v12, vcc_lo
	v_add_co_u32 v4, vcc_lo, v4, v10
	v_add_co_ci_u32_e32 v7, vcc_lo, v7, v11, vcc_lo
	v_mul_hi_u32 v10, s0, v4
	v_mul_lo_u32 v12, s26, v4
	v_mul_lo_u32 v11, s0, v7
	v_add_nc_u32_e32 v10, v10, v11
	v_mul_lo_u32 v11, s0, v4
	v_add_nc_u32_e32 v10, v10, v12
	v_mul_hi_u32 v12, v4, v11
	v_mul_lo_u32 v13, v4, v10
	v_mul_hi_u32 v14, v4, v10
	v_mul_hi_u32 v15, v7, v11
	v_mul_lo_u32 v11, v7, v11
	v_mul_hi_u32 v16, v7, v10
	v_mul_lo_u32 v10, v7, v10
	v_add_co_u32 v12, vcc_lo, v12, v13
	v_add_co_ci_u32_e32 v13, vcc_lo, 0, v14, vcc_lo
	v_add_co_u32 v11, vcc_lo, v12, v11
	v_add_co_ci_u32_e32 v11, vcc_lo, v13, v15, vcc_lo
	v_add_co_ci_u32_e32 v12, vcc_lo, 0, v16, vcc_lo
	v_add_co_u32 v10, vcc_lo, v11, v10
	v_add_co_ci_u32_e32 v11, vcc_lo, 0, v12, vcc_lo
	v_add_co_u32 v4, vcc_lo, v4, v10
	v_add_co_ci_u32_e32 v7, vcc_lo, v7, v11, vcc_lo
	v_mul_hi_u32 v16, v5, v4
	v_mad_u64_u32 v[12:13], null, v6, v4, 0
	v_mad_u64_u32 v[10:11], null, v5, v7, 0
	;; [unrolled: 1-line block ×3, first 2 shown]
	v_add_co_u32 v4, vcc_lo, v16, v10
	v_add_co_ci_u32_e32 v7, vcc_lo, 0, v11, vcc_lo
	v_add_co_u32 v4, vcc_lo, v4, v12
	v_add_co_ci_u32_e32 v4, vcc_lo, v7, v13, vcc_lo
	v_add_co_ci_u32_e32 v7, vcc_lo, 0, v15, vcc_lo
	v_add_co_u32 v4, vcc_lo, v4, v14
	v_add_co_ci_u32_e32 v7, vcc_lo, 0, v7, vcc_lo
	v_mul_lo_u32 v12, s25, v4
	v_mad_u64_u32 v[10:11], null, s24, v4, 0
	v_mul_lo_u32 v13, s24, v7
	v_sub_co_u32 v10, vcc_lo, v5, v10
	v_add3_u32 v11, v11, v13, v12
	v_sub_nc_u32_e32 v12, v6, v11
	v_subrev_co_ci_u32_e64 v12, s0, s25, v12, vcc_lo
	v_add_co_u32 v13, s0, v4, 2
	v_add_co_ci_u32_e64 v14, s0, 0, v7, s0
	v_sub_co_u32 v15, s0, v10, s24
	v_sub_co_ci_u32_e32 v11, vcc_lo, v6, v11, vcc_lo
	v_subrev_co_ci_u32_e64 v12, s0, 0, v12, s0
	v_cmp_le_u32_e32 vcc_lo, s24, v15
	v_cmp_eq_u32_e64 s0, s25, v11
	v_cndmask_b32_e64 v15, 0, -1, vcc_lo
	v_cmp_le_u32_e32 vcc_lo, s25, v12
	v_cndmask_b32_e64 v16, 0, -1, vcc_lo
	v_cmp_le_u32_e32 vcc_lo, s24, v10
	;; [unrolled: 2-line block ×3, first 2 shown]
	v_cndmask_b32_e64 v17, 0, -1, vcc_lo
	v_cmp_eq_u32_e32 vcc_lo, s25, v12
	v_cndmask_b32_e64 v10, v17, v10, s0
	v_cndmask_b32_e32 v12, v16, v15, vcc_lo
	v_add_co_u32 v15, vcc_lo, v4, 1
	v_add_co_ci_u32_e32 v16, vcc_lo, 0, v7, vcc_lo
	v_cmp_ne_u32_e32 vcc_lo, 0, v12
	v_cndmask_b32_e32 v11, v16, v14, vcc_lo
	v_cndmask_b32_e32 v12, v15, v13, vcc_lo
	v_cmp_ne_u32_e32 vcc_lo, 0, v10
	v_cndmask_b32_e32 v13, v7, v11, vcc_lo
	v_cndmask_b32_e32 v12, v4, v12, vcc_lo
.LBB0_4:                                ;   in Loop: Header=BB0_2 Depth=1
	s_andn2_saveexec_b32 s0, s1
	s_cbranch_execz .LBB0_6
; %bb.5:                                ;   in Loop: Header=BB0_2 Depth=1
	v_cvt_f32_u32_e32 v4, s24
	s_sub_i32 s1, 0, s24
	v_mov_b32_e32 v13, v3
	v_rcp_iflag_f32_e32 v4, v4
	v_mul_f32_e32 v4, 0x4f7ffffe, v4
	v_cvt_u32_f32_e32 v4, v4
	v_mul_lo_u32 v7, s1, v4
	v_mul_hi_u32 v7, v4, v7
	v_add_nc_u32_e32 v4, v4, v7
	v_mul_hi_u32 v4, v5, v4
	v_mul_lo_u32 v7, v4, s24
	v_add_nc_u32_e32 v10, 1, v4
	v_sub_nc_u32_e32 v7, v5, v7
	v_subrev_nc_u32_e32 v11, s24, v7
	v_cmp_le_u32_e32 vcc_lo, s24, v7
	v_cndmask_b32_e32 v7, v7, v11, vcc_lo
	v_cndmask_b32_e32 v4, v4, v10, vcc_lo
	v_cmp_le_u32_e32 vcc_lo, s24, v7
	v_add_nc_u32_e32 v10, 1, v4
	v_cndmask_b32_e32 v12, v4, v10, vcc_lo
.LBB0_6:                                ;   in Loop: Header=BB0_2 Depth=1
	s_or_b32 exec_lo, exec_lo, s0
	v_mul_lo_u32 v4, v13, s24
	v_mul_lo_u32 v7, v12, s25
	s_load_dwordx2 s[0:1], s[6:7], 0x0
	v_mad_u64_u32 v[10:11], null, v12, s24, 0
	s_load_dwordx2 s[24:25], s[2:3], 0x0
	s_add_u32 s22, s22, 1
	s_addc_u32 s23, s23, 0
	s_add_u32 s2, s2, 8
	s_addc_u32 s3, s3, 0
	s_add_u32 s6, s6, 8
	v_add3_u32 v4, v11, v7, v4
	v_sub_co_u32 v5, vcc_lo, v5, v10
	s_addc_u32 s7, s7, 0
	s_add_u32 s20, s20, 8
	v_sub_co_ci_u32_e32 v4, vcc_lo, v6, v4, vcc_lo
	s_addc_u32 s21, s21, 0
	s_waitcnt lgkmcnt(0)
	v_mul_lo_u32 v6, s0, v4
	v_mul_lo_u32 v7, s1, v5
	v_mad_u64_u32 v[1:2], null, s0, v5, v[1:2]
	v_mul_lo_u32 v4, s24, v4
	v_mul_lo_u32 v10, s25, v5
	v_mad_u64_u32 v[8:9], null, s24, v5, v[8:9]
	v_cmp_ge_u64_e64 s0, s[22:23], s[14:15]
	v_add3_u32 v2, v7, v2, v6
	v_add3_u32 v9, v10, v9, v4
	s_and_b32 vcc_lo, exec_lo, s0
	s_cbranch_vccnz .LBB0_9
; %bb.7:                                ;   in Loop: Header=BB0_2 Depth=1
	v_mov_b32_e32 v5, v12
	v_mov_b32_e32 v6, v13
	s_branch .LBB0_2
.LBB0_8:
	v_mov_b32_e32 v9, v2
	v_mov_b32_e32 v13, v6
	;; [unrolled: 1-line block ×4, first 2 shown]
.LBB0_9:
	s_load_dwordx2 s[0:1], s[4:5], 0x28
	v_mul_hi_u32 v3, 0x25ed098, v0
	s_lshl_b64 s[4:5], s[14:15], 3
                                        ; implicit-def: $vgpr10
                                        ; implicit-def: $vgpr14
	s_add_u32 s2, s18, s4
	s_addc_u32 s3, s19, s5
	s_waitcnt lgkmcnt(0)
	v_cmp_gt_u64_e32 vcc_lo, s[0:1], v[12:13]
	v_cmp_le_u64_e64 s0, s[0:1], v[12:13]
	s_and_saveexec_b32 s1, s0
	s_xor_b32 s0, exec_lo, s1
; %bb.10:
	v_mul_u32_u24_e32 v1, 0x6c, v3
                                        ; implicit-def: $vgpr3
	v_sub_nc_u32_e32 v10, v0, v1
                                        ; implicit-def: $vgpr0
                                        ; implicit-def: $vgpr1_vgpr2
	v_add_nc_u32_e32 v14, 0x6c, v10
; %bb.11:
	s_andn2_saveexec_b32 s1, s0
	s_cbranch_execz .LBB0_13
; %bb.12:
	s_add_u32 s4, s16, s4
	s_addc_u32 s5, s17, s5
	v_lshlrev_b64 v[1:2], 4, v[1:2]
	s_load_dwordx2 s[4:5], s[4:5], 0x0
	s_waitcnt lgkmcnt(0)
	v_mul_lo_u32 v6, s5, v12
	v_mul_lo_u32 v7, s4, v13
	v_mad_u64_u32 v[4:5], null, s4, v12, 0
	v_add3_u32 v5, v5, v7, v6
	v_mul_u32_u24_e32 v6, 0x6c, v3
	v_lshlrev_b64 v[3:4], 4, v[4:5]
	v_sub_nc_u32_e32 v10, v0, v6
	v_lshlrev_b32_e32 v11, 4, v10
	v_add_co_u32 v0, s0, s8, v3
	v_add_co_ci_u32_e64 v3, s0, s9, v4, s0
	v_add_co_u32 v0, s0, v0, v1
	v_add_co_ci_u32_e64 v1, s0, v3, v2, s0
	;; [unrolled: 2-line block ×3, first 2 shown]
	s_clause 0x1
	global_load_dwordx4 v[0:3], v[31:32], off
	global_load_dwordx4 v[4:7], v[31:32], off offset:1728
	v_add_co_u32 v14, s0, 0x800, v31
	v_add_co_ci_u32_e64 v15, s0, 0, v32, s0
	v_add_co_u32 v19, s0, 0x1000, v31
	v_add_co_ci_u32_e64 v20, s0, 0, v32, s0
	;; [unrolled: 2-line block ×9, first 2 shown]
	s_clause 0x9
	global_load_dwordx4 v[15:18], v[14:15], off offset:1408
	global_load_dwordx4 v[19:22], v[19:20], off offset:1088
	;; [unrolled: 1-line block ×10, first 2 shown]
	v_add_nc_u32_e32 v11, 0, v11
	v_add_nc_u32_e32 v14, 0x6c, v10
	s_waitcnt vmcnt(11)
	ds_write_b128 v11, v[0:3]
	s_waitcnt vmcnt(10)
	ds_write_b128 v11, v[4:7] offset:1728
	s_waitcnt vmcnt(9)
	ds_write_b128 v11, v[15:18] offset:3456
	;; [unrolled: 2-line block ×11, first 2 shown]
.LBB0_13:
	s_or_b32 exec_lo, exec_lo, s1
	v_lshlrev_b32_e32 v0, 4, v10
	s_load_dwordx2 s[2:3], s[2:3], 0x0
	s_waitcnt lgkmcnt(0)
	s_barrier
	buffer_gl0_inv
	v_add_nc_u32_e32 v20, 0, v0
	s_mov_b32 s4, 0xe8584caa
	s_mov_b32 s5, 0x3febb67a
	;; [unrolled: 1-line block ×4, first 2 shown]
	ds_read_b128 v[3:6], v20 offset:17280
	ds_read_b128 v[15:18], v20 offset:10368
	;; [unrolled: 1-line block ×6, first 2 shown]
	ds_read_b128 v[37:40], v20
	ds_read_b128 v[41:44], v20 offset:5184
	ds_read_b128 v[45:48], v20 offset:13824
	;; [unrolled: 1-line block ×4, first 2 shown]
	s_add_u32 s1, s12, 0x50a0
	s_waitcnt lgkmcnt(9)
	v_add_f64 v[1:2], v[17:18], v[5:6]
	v_add_f64 v[57:58], v[15:16], v[3:4]
	s_waitcnt lgkmcnt(7)
	v_add_f64 v[61:62], v[21:22], v[25:26]
	v_add_f64 v[63:64], v[23:24], v[27:28]
	v_add_f64 v[65:66], v[15:16], -v[3:4]
	v_add_f64 v[67:68], v[17:18], -v[5:6]
	s_waitcnt lgkmcnt(4)
	v_add_f64 v[71:72], v[37:38], v[33:34]
	v_add_f64 v[73:74], v[39:40], v[35:36]
	v_add_f64 v[75:76], v[23:24], -v[27:28]
	v_add_f64 v[77:78], v[21:22], -v[25:26]
	v_add_f64 v[15:16], v[29:30], v[15:16]
	v_add_f64 v[17:18], v[31:32], v[17:18]
	s_waitcnt lgkmcnt(3)
	v_add_f64 v[23:24], v[43:44], v[23:24]
	v_add_f64 v[21:22], v[41:42], v[21:22]
	v_fma_f64 v[1:2], v[1:2], -0.5, v[31:32]
	v_fma_f64 v[69:70], v[57:58], -0.5, v[29:30]
	ds_read_b128 v[57:60], v20 offset:15552
	v_fma_f64 v[61:62], v[61:62], -0.5, v[41:42]
	v_fma_f64 v[63:64], v[63:64], -0.5, v[43:44]
	s_waitcnt lgkmcnt(3)
	v_add_f64 v[29:30], v[33:34], v[45:46]
	v_add_f64 v[31:32], v[35:36], v[47:48]
	v_add_f64 v[35:36], v[35:36], -v[47:48]
	v_add_f64 v[33:34], v[33:34], -v[45:46]
	s_waitcnt lgkmcnt(1)
	v_add_f64 v[41:42], v[49:50], v[53:54]
	v_add_f64 v[45:46], v[71:72], v[45:46]
	;; [unrolled: 1-line block ×5, first 2 shown]
	s_waitcnt lgkmcnt(0)
	s_barrier
	buffer_gl0_inv
	v_add_f64 v[81:82], v[55:56], v[59:60]
	v_fma_f64 v[43:44], v[65:66], s[6:7], v[1:2]
	v_fma_f64 v[79:80], v[67:68], s[6:7], v[69:70]
	;; [unrolled: 1-line block ×3, first 2 shown]
	v_add_f64 v[69:70], v[53:54], v[57:58]
	v_fma_f64 v[65:66], v[65:66], s[4:5], v[1:2]
	v_fma_f64 v[71:72], v[75:76], s[4:5], v[61:62]
	;; [unrolled: 1-line block ×4, first 2 shown]
	v_add_f64 v[75:76], v[51:52], v[55:56]
	v_fma_f64 v[63:64], v[77:78], s[4:5], v[63:64]
	v_fma_f64 v[29:30], v[29:30], -0.5, v[37:38]
	v_fma_f64 v[31:32], v[31:32], -0.5, v[39:40]
	v_add_f64 v[39:40], v[15:16], v[3:4]
	v_add_f64 v[77:78], v[17:18], v[5:6]
	v_add_f64 v[55:56], v[55:56], -v[59:60]
	v_add_f64 v[53:54], v[53:54], -v[57:58]
	v_add_f64 v[41:42], v[41:42], v[57:58]
	v_and_b32_e32 v2, 0xff, v10
	v_mul_i32_i24_e32 v3, 6, v14
	v_fma_f64 v[51:52], v[81:82], -0.5, v[51:52]
	v_mul_f64 v[37:38], v[43:44], s[4:5]
	v_mul_f64 v[17:18], v[79:80], -0.5
	v_mul_f64 v[15:16], v[67:68], s[6:7]
	v_fma_f64 v[5:6], v[69:70], -0.5, v[49:50]
	v_mul_f64 v[49:50], v[65:66], -0.5
	v_mul_f64 v[69:70], v[71:72], s[6:7]
	v_mul_f64 v[57:58], v[73:74], s[4:5]
	v_mul_lo_u16 v1, 0xab, v2
	v_add_f64 v[59:60], v[75:76], v[59:60]
	v_mul_f64 v[75:76], v[61:62], -0.5
	v_mul_f64 v[81:82], v[63:64], -0.5
	v_fma_f64 v[87:88], v[35:36], s[4:5], v[29:30]
	v_fma_f64 v[91:92], v[33:34], s[6:7], v[31:32]
	;; [unrolled: 1-line block ×4, first 2 shown]
	v_lshrrev_b16 v4, 10, v1
	v_add_f64 v[22:23], v[45:46], -v[39:40]
	v_add_f64 v[24:25], v[47:48], -v[77:78]
	v_add_f64 v[26:27], v[41:42], v[83:84]
	v_add_f64 v[30:31], v[41:42], -v[83:84]
	v_mul_lo_u16 v7, v4, 6
	v_fma_f64 v[97:98], v[53:54], s[6:7], v[51:52]
	v_fma_f64 v[67:68], v[67:68], 0.5, v[37:38]
	v_fma_f64 v[65:66], v[65:66], s[4:5], v[17:18]
	v_fma_f64 v[43:44], v[43:44], 0.5, v[15:16]
	v_fma_f64 v[95:96], v[55:56], s[4:5], v[5:6]
	v_fma_f64 v[49:50], v[79:80], s[6:7], v[49:50]
	;; [unrolled: 1-line block ×3, first 2 shown]
	v_fma_f64 v[55:56], v[71:72], 0.5, v[57:58]
	v_fma_f64 v[69:70], v[73:74], 0.5, v[69:70]
	v_fma_f64 v[71:72], v[53:54], s[4:5], v[51:52]
	v_fma_f64 v[63:64], v[63:64], s[4:5], v[75:76]
	;; [unrolled: 1-line block ×3, first 2 shown]
	v_add_f64 v[15:16], v[45:46], v[39:40]
	v_add_f64 v[17:18], v[47:48], v[77:78]
	;; [unrolled: 1-line block ×3, first 2 shown]
	v_mov_b32_e32 v1, 5
	v_sub_nc_u16 v6, v10, v7
	v_add_f64 v[32:33], v[59:60], -v[85:86]
	v_lshl_add_u32 v21, v3, 4, 0
	v_mad_u32_u24 v5, 0x50, v10, v20
	v_and_b32_e32 v7, 0xff, v14
	v_mul_u32_u24_sdwa v3, v6, v1 dst_sel:DWORD dst_unused:UNUSED_PAD src0_sel:BYTE_0 src1_sel:DWORD
	v_mul_lo_u16 v2, v2, 57
	v_add_f64 v[34:35], v[87:88], v[67:68]
	v_add_f64 v[38:39], v[87:88], -v[67:68]
	v_add_f64 v[36:37], v[91:92], v[43:44]
	v_add_f64 v[40:41], v[91:92], -v[43:44]
	v_add_f64 v[42:43], v[89:90], v[65:66]
	v_add_f64 v[44:45], v[93:94], v[49:50]
	v_add_f64 v[46:47], v[89:90], -v[65:66]
	v_add_f64 v[48:49], v[93:94], -v[49:50]
	v_add_f64 v[50:51], v[95:96], v[55:56]
	v_add_f64 v[52:53], v[97:98], v[69:70]
	v_add_f64 v[58:59], v[79:80], v[63:64]
	v_add_f64 v[60:61], v[71:72], v[73:74]
	v_add_f64 v[54:55], v[95:96], -v[55:56]
	v_add_f64 v[56:57], v[97:98], -v[69:70]
	;; [unrolled: 1-line block ×4, first 2 shown]
	v_lshlrev_b32_e32 v3, 4, v3
	ds_write_b128 v5, v[15:18]
	ds_write_b128 v5, v[22:25] offset:48
	ds_write_b128 v5, v[34:37] offset:16
	;; [unrolled: 1-line block ×5, first 2 shown]
	ds_write_b128 v21, v[26:29]
	ds_write_b128 v21, v[50:53] offset:16
	ds_write_b128 v21, v[58:61] offset:32
	;; [unrolled: 1-line block ×5, first 2 shown]
	s_waitcnt lgkmcnt(0)
	s_barrier
	buffer_gl0_inv
	s_clause 0x4
	global_load_dwordx4 v[16:19], v3, s[12:13]
	global_load_dwordx4 v[22:25], v3, s[12:13] offset:16
	global_load_dwordx4 v[26:29], v3, s[12:13] offset:32
	;; [unrolled: 1-line block ×4, first 2 shown]
	v_mul_lo_u16 v5, 0xab, v7
	v_lshrrev_b16 v15, 10, v5
	v_lshrrev_b16 v5, 11, v2
	v_mov_b32_e32 v2, 4
	v_mul_lo_u16 v3, v15, 6
	v_lshlrev_b32_sdwa v6, v2, v6 dst_sel:DWORD dst_unused:UNUSED_PAD src0_sel:DWORD src1_sel:BYTE_0
	v_sub_nc_u16 v11, v14, v3
	v_mul_u32_u24_sdwa v3, v11, v1 dst_sel:DWORD dst_unused:UNUSED_PAD src0_sel:BYTE_0 src1_sel:DWORD
	v_lshlrev_b32_sdwa v11, v2, v11 dst_sel:DWORD dst_unused:UNUSED_PAD src0_sel:DWORD src1_sel:BYTE_0
	v_lshlrev_b32_e32 v3, 4, v3
	global_load_dwordx4 v[38:41], v3, s[12:13]
	ds_read_b128 v[42:45], v20 offset:3456
	ds_read_b128 v[46:49], v20
	ds_read_b128 v[50:53], v20 offset:6912
	ds_read_b128 v[54:57], v20 offset:10368
	;; [unrolled: 1-line block ×4, first 2 shown]
	s_waitcnt vmcnt(5) lgkmcnt(5)
	v_mul_f64 v[66:67], v[44:45], v[18:19]
	v_mul_f64 v[18:19], v[42:43], v[18:19]
	s_waitcnt vmcnt(4) lgkmcnt(3)
	v_mul_f64 v[68:69], v[52:53], v[24:25]
	v_mul_f64 v[24:25], v[50:51], v[24:25]
	;; [unrolled: 3-line block ×3, first 2 shown]
	v_fma_f64 v[66:67], v[42:43], v[16:17], -v[66:67]
	v_fma_f64 v[70:71], v[44:45], v[16:17], v[18:19]
	ds_read_b128 v[16:19], v20 offset:13824
	v_fma_f64 v[68:69], v[50:51], v[22:23], -v[68:69]
	v_fma_f64 v[74:75], v[52:53], v[22:23], v[24:25]
	ds_read_b128 v[50:53], v20 offset:15552
	ds_read_b128 v[22:25], v20 offset:17280
	v_fma_f64 v[54:55], v[54:55], v[26:27], -v[72:73]
	v_fma_f64 v[56:57], v[56:57], v[26:27], v[28:29]
	global_load_dwordx4 v[26:29], v3, s[12:13] offset:16
	ds_read_b128 v[42:45], v20 offset:12096
	s_waitcnt vmcnt(3) lgkmcnt(3)
	v_mul_f64 v[76:77], v[18:19], v[32:33]
	v_mul_f64 v[32:33], v[16:17], v[32:33]
	v_fma_f64 v[72:73], v[16:17], v[30:31], -v[76:77]
	v_fma_f64 v[76:77], v[18:19], v[30:31], v[32:33]
	s_waitcnt vmcnt(2) lgkmcnt(1)
	v_mul_f64 v[30:31], v[24:25], v[36:37]
	v_mul_f64 v[32:33], v[22:23], v[36:37]
	global_load_dwordx4 v[16:19], v3, s[12:13] offset:32
	v_fma_f64 v[36:37], v[22:23], v[34:35], -v[30:31]
	v_fma_f64 v[34:35], v[24:25], v[34:35], v[32:33]
	global_load_dwordx4 v[22:25], v3, s[12:13] offset:48
	s_waitcnt vmcnt(3)
	v_mul_f64 v[30:31], v[60:61], v[40:41]
	v_mul_f64 v[32:33], v[58:59], v[40:41]
	v_fma_f64 v[40:41], v[58:59], v[38:39], -v[30:31]
	v_fma_f64 v[38:39], v[60:61], v[38:39], v[32:33]
	global_load_dwordx4 v[30:33], v3, s[12:13] offset:64
	v_mad_i32_i24 v3, 0xffffffb0, v14, v21
	s_waitcnt vmcnt(3)
	v_mul_f64 v[58:59], v[64:65], v[28:29]
	v_mul_f64 v[28:29], v[62:63], v[28:29]
	v_fma_f64 v[58:59], v[62:63], v[26:27], -v[58:59]
	v_fma_f64 v[28:29], v[64:65], v[26:27], v[28:29]
	s_waitcnt vmcnt(1)
	v_mul_f64 v[62:63], v[52:53], v[24:25]
	v_mul_f64 v[64:65], v[50:51], v[24:25]
	ds_read_b128 v[24:27], v3
	s_waitcnt lgkmcnt(1)
	v_mul_f64 v[60:61], v[44:45], v[18:19]
	v_mul_f64 v[18:19], v[42:43], v[18:19]
	v_fma_f64 v[50:51], v[50:51], v[22:23], -v[62:63]
	v_fma_f64 v[22:23], v[52:53], v[22:23], v[64:65]
	v_add_f64 v[62:63], v[74:75], v[76:77]
	v_fma_f64 v[42:43], v[42:43], v[16:17], -v[60:61]
	v_fma_f64 v[44:45], v[44:45], v[16:17], v[18:19]
	ds_read_b128 v[16:19], v20 offset:19008
	v_add_f64 v[60:61], v[68:69], v[72:73]
	v_add_f64 v[64:65], v[48:49], v[74:75]
	v_add_f64 v[74:75], v[74:75], -v[76:77]
	s_waitcnt vmcnt(0) lgkmcnt(0)
	s_barrier
	buffer_gl0_inv
	v_fma_f64 v[48:49], v[62:63], -0.5, v[48:49]
	v_mul_f64 v[52:53], v[18:19], v[32:33]
	v_mul_f64 v[32:33], v[16:17], v[32:33]
	v_add_f64 v[62:63], v[56:57], v[34:35]
	v_add_f64 v[64:65], v[64:65], v[76:77]
	v_fma_f64 v[16:17], v[16:17], v[30:31], -v[52:53]
	v_fma_f64 v[18:19], v[18:19], v[30:31], v[32:33]
	v_add_f64 v[30:31], v[58:59], v[50:51]
	v_add_f64 v[32:33], v[28:29], v[22:23]
	;; [unrolled: 1-line block ×3, first 2 shown]
	v_fma_f64 v[46:47], v[60:61], -0.5, v[46:47]
	v_add_f64 v[60:61], v[24:25], v[58:59]
	v_add_f64 v[68:69], v[68:69], -v[72:73]
	v_fma_f64 v[62:63], v[62:63], -0.5, v[70:71]
	v_add_f64 v[70:71], v[70:71], v[56:57]
	v_add_f64 v[56:57], v[56:57], -v[34:35]
	v_add_f64 v[58:59], v[58:59], -v[50:51]
	v_add_f64 v[76:77], v[42:43], v[16:17]
	v_fma_f64 v[24:25], v[30:31], -0.5, v[24:25]
	v_fma_f64 v[30:31], v[32:33], -0.5, v[26:27]
	v_add_f64 v[32:33], v[54:55], v[36:37]
	v_add_f64 v[52:53], v[52:53], v[72:73]
	;; [unrolled: 1-line block ×3, first 2 shown]
	v_add_f64 v[54:55], v[54:55], -v[36:37]
	v_add_f64 v[26:27], v[26:27], v[28:29]
	v_add_f64 v[34:35], v[70:71], v[34:35]
	;; [unrolled: 1-line block ×3, first 2 shown]
	v_add_f64 v[28:29], v[28:29], -v[22:23]
	v_fma_f64 v[80:81], v[74:75], s[4:5], v[46:47]
	v_fma_f64 v[82:83], v[68:69], s[6:7], v[48:49]
	;; [unrolled: 1-line block ×5, first 2 shown]
	v_fma_f64 v[32:33], v[32:33], -0.5, v[66:67]
	v_add_f64 v[66:67], v[44:45], v[18:19]
	v_add_f64 v[36:37], v[72:73], v[36:37]
	;; [unrolled: 1-line block ×3, first 2 shown]
	v_fma_f64 v[40:41], v[76:77], -0.5, v[40:41]
	v_add_f64 v[76:77], v[38:39], v[44:45]
	v_add_f64 v[44:45], v[44:45], -v[18:19]
	v_add_f64 v[42:43], v[42:43], -v[16:17]
	v_add_f64 v[78:79], v[26:27], v[22:23]
	v_fma_f64 v[68:69], v[28:29], s[6:7], v[24:25]
	v_fma_f64 v[84:85], v[58:59], s[4:5], v[30:31]
	v_fma_f64 v[38:39], v[66:67], -0.5, v[38:39]
	v_fma_f64 v[66:67], v[56:57], s[4:5], v[32:33]
	v_fma_f64 v[32:33], v[56:57], s[6:7], v[32:33]
	;; [unrolled: 1-line block ×6, first 2 shown]
	v_add_f64 v[72:73], v[72:73], v[16:17]
	v_add_f64 v[76:77], v[76:77], v[18:19]
	v_fma_f64 v[70:71], v[42:43], s[6:7], v[38:39]
	v_fma_f64 v[38:39], v[42:43], s[4:5], v[38:39]
	v_mul_f64 v[42:43], v[66:67], s[6:7]
	v_mul_f64 v[44:45], v[56:57], s[4:5]
	v_mul_f64 v[60:61], v[32:33], -0.5
	v_mul_f64 v[16:17], v[54:55], -0.5
	v_mul_f64 v[22:23], v[62:63], s[6:7]
	v_mul_f64 v[26:27], v[40:41], -0.5
	v_add_f64 v[30:31], v[50:51], -v[72:73]
	v_mul_f64 v[18:19], v[70:71], s[4:5]
	v_fma_f64 v[42:43], v[56:57], 0.5, v[42:43]
	v_mul_f64 v[56:57], v[38:39], -0.5
	v_fma_f64 v[44:45], v[66:67], 0.5, v[44:45]
	v_mov_b32_e32 v66, 0x240
	v_fma_f64 v[54:55], v[54:55], s[4:5], v[60:61]
	v_mul_lo_u16 v60, v5, 36
	v_fma_f64 v[70:71], v[70:71], 0.5, v[22:23]
	v_fma_f64 v[86:87], v[38:39], s[4:5], v[26:27]
	v_mul_u32_u24_sdwa v90, v4, v66 dst_sel:DWORD dst_unused:UNUSED_PAD src0_sel:WORD_0 src1_sel:DWORD
	v_mul_u32_u24_sdwa v91, v15, v66 dst_sel:DWORD dst_unused:UNUSED_PAD src0_sel:WORD_0 src1_sel:DWORD
	v_sub_nc_u16 v4, v10, v60
	v_fma_f64 v[60:61], v[32:33], s[6:7], v[16:17]
	v_fma_f64 v[66:67], v[28:29], s[4:5], v[24:25]
	v_add_f64 v[15:16], v[52:53], v[36:37]
	v_add_f64 v[22:23], v[52:53], -v[36:37]
	v_add_f64 v[24:25], v[64:65], -v[34:35]
	v_add_f64 v[26:27], v[50:51], v[72:73]
	v_add_f64 v[28:29], v[78:79], v[76:77]
	v_add_f64 v[32:33], v[78:79], -v[76:77]
	v_add3_u32 v6, 0, v90, v6
	v_fma_f64 v[62:63], v[62:63], 0.5, v[18:19]
	v_add_f64 v[17:18], v[64:65], v[34:35]
	v_add_f64 v[36:37], v[82:83], v[42:43]
	v_fma_f64 v[88:89], v[40:41], s[6:7], v[56:57]
	v_add_f64 v[34:35], v[80:81], v[44:45]
	v_add_f64 v[38:39], v[80:81], -v[44:45]
	v_add_f64 v[40:41], v[82:83], -v[42:43]
	v_add_f64 v[42:43], v[46:47], v[54:55]
	v_add_f64 v[46:47], v[46:47], -v[54:55]
	v_add_f64 v[52:53], v[74:75], v[70:71]
	v_add_f64 v[58:59], v[68:69], v[86:87]
	v_add_f64 v[56:57], v[74:75], -v[70:71]
	v_mul_u32_u24_sdwa v19, v4, v1 dst_sel:DWORD dst_unused:UNUSED_PAD src0_sel:BYTE_0 src1_sel:DWORD
	v_add_f64 v[44:45], v[48:49], v[60:61]
	v_add_f64 v[48:49], v[48:49], -v[60:61]
	v_add3_u32 v11, 0, v91, v11
	v_lshlrev_b32_sdwa v4, v2, v4 dst_sel:DWORD dst_unused:UNUSED_PAD src0_sel:DWORD src1_sel:BYTE_0
	v_lshlrev_b32_e32 v19, 4, v19
	v_add_f64 v[50:51], v[66:67], v[62:63]
	v_add_f64 v[54:55], v[66:67], -v[62:63]
	v_add_f64 v[62:63], v[68:69], -v[86:87]
	v_add_f64 v[60:61], v[84:85], v[88:89]
	v_add_f64 v[64:65], v[84:85], -v[88:89]
	ds_write_b128 v6, v[15:18]
	ds_write_b128 v6, v[22:25] offset:288
	ds_write_b128 v6, v[34:37] offset:96
	;; [unrolled: 1-line block ×5, first 2 shown]
	ds_write_b128 v11, v[26:29]
	ds_write_b128 v11, v[50:53] offset:96
	ds_write_b128 v11, v[58:61] offset:192
	ds_write_b128 v11, v[30:33] offset:288
	ds_write_b128 v11, v[54:57] offset:384
	ds_write_b128 v11, v[62:65] offset:480
	s_waitcnt lgkmcnt(0)
	s_barrier
	buffer_gl0_inv
	s_clause 0x3
	global_load_dwordx4 v[15:18], v19, s[12:13] offset:480
	global_load_dwordx4 v[22:25], v19, s[12:13] offset:496
	;; [unrolled: 1-line block ×4, first 2 shown]
	v_mul_lo_u16 v6, v7, 57
	global_load_dwordx4 v[34:37], v19, s[12:13] offset:544
	v_mov_b32_e32 v11, 0xd80
	v_lshrrev_b16 v7, 11, v6
	v_mul_u32_u24_sdwa v5, v5, v11 dst_sel:DWORD dst_unused:UNUSED_PAD src0_sel:WORD_0 src1_sel:DWORD
	v_mul_lo_u16 v6, v7, 36
	v_mul_u32_u24_sdwa v7, v7, v11 dst_sel:DWORD dst_unused:UNUSED_PAD src0_sel:WORD_0 src1_sel:DWORD
	v_add3_u32 v4, 0, v5, v4
	v_sub_nc_u16 v6, v14, v6
	v_mul_u32_u24_sdwa v1, v6, v1 dst_sel:DWORD dst_unused:UNUSED_PAD src0_sel:BYTE_0 src1_sel:DWORD
	v_lshlrev_b32_sdwa v6, v2, v6 dst_sel:DWORD dst_unused:UNUSED_PAD src0_sel:DWORD src1_sel:BYTE_0
	v_lshlrev_b32_e32 v1, 4, v1
	v_add3_u32 v5, 0, v7, v6
	global_load_dwordx4 v[38:41], v1, s[12:13] offset:480
	ds_read_b128 v[42:45], v20 offset:3456
	ds_read_b128 v[46:49], v20 offset:6912
	;; [unrolled: 1-line block ×3, first 2 shown]
	ds_read_b128 v[54:57], v20
	ds_read_b128 v[58:61], v20 offset:5184
	ds_read_b128 v[62:65], v20 offset:8640
	;; [unrolled: 1-line block ×3, first 2 shown]
	s_waitcnt vmcnt(5) lgkmcnt(6)
	v_mul_f64 v[70:71], v[44:45], v[17:18]
	s_waitcnt vmcnt(4) lgkmcnt(5)
	v_mul_f64 v[72:73], v[48:49], v[24:25]
	v_mul_f64 v[24:25], v[46:47], v[24:25]
	;; [unrolled: 1-line block ×3, first 2 shown]
	s_waitcnt vmcnt(3) lgkmcnt(4)
	v_mul_f64 v[74:75], v[52:53], v[28:29]
	v_mul_f64 v[28:29], v[50:51], v[28:29]
	v_fma_f64 v[70:71], v[42:43], v[15:16], -v[70:71]
	v_fma_f64 v[46:47], v[46:47], v[22:23], -v[72:73]
	v_fma_f64 v[48:49], v[48:49], v[22:23], v[24:25]
	ds_read_b128 v[22:25], v20 offset:17280
	v_fma_f64 v[76:77], v[44:45], v[15:16], v[17:18]
	ds_read_b128 v[42:45], v20 offset:15552
	ds_read_b128 v[15:18], v20 offset:12096
	s_waitcnt vmcnt(2) lgkmcnt(3)
	v_mul_f64 v[78:79], v[68:69], v[32:33]
	v_mul_f64 v[32:33], v[66:67], v[32:33]
	v_fma_f64 v[50:51], v[50:51], v[26:27], -v[74:75]
	v_fma_f64 v[52:53], v[52:53], v[26:27], v[28:29]
	global_load_dwordx4 v[26:29], v1, s[12:13] offset:496
	s_waitcnt vmcnt(1)
	v_mul_f64 v[74:75], v[60:61], v[40:41]
	s_waitcnt lgkmcnt(2)
	v_mul_f64 v[72:73], v[24:25], v[36:37]
	v_mul_f64 v[36:37], v[22:23], v[36:37]
	v_fma_f64 v[66:67], v[66:67], v[30:31], -v[78:79]
	v_fma_f64 v[68:69], v[68:69], v[30:31], v[32:33]
	global_load_dwordx4 v[30:33], v1, s[12:13] offset:512
	v_fma_f64 v[72:73], v[22:23], v[34:35], -v[72:73]
	v_fma_f64 v[78:79], v[24:25], v[34:35], v[36:37]
	global_load_dwordx4 v[22:25], v1, s[12:13] offset:528
	v_mul_f64 v[34:35], v[58:59], v[40:41]
	v_fma_f64 v[40:41], v[58:59], v[38:39], -v[74:75]
	v_add_f64 v[74:75], v[50:51], v[72:73]
	v_fma_f64 v[38:39], v[60:61], v[38:39], v[34:35]
	global_load_dwordx4 v[34:37], v1, s[12:13] offset:544
	v_mul_u32_u24_e32 v1, 5, v10
	v_lshlrev_b32_e32 v1, 4, v1
	v_add_co_u32 v19, s0, s12, v1
	v_add_co_ci_u32_e64 v90, null, s13, 0, s0
	v_add_co_u32 v1, s0, 0x800, v19
	v_fma_f64 v[74:75], v[74:75], -0.5, v[70:71]
	v_add_f64 v[70:71], v[70:71], v[50:51]
	v_add_f64 v[50:51], v[50:51], -v[72:73]
	v_add_co_ci_u32_e64 v2, s0, 0, v90, s0
	v_add_f64 v[70:71], v[70:71], v[72:73]
	s_waitcnt vmcnt(3)
	v_mul_f64 v[58:59], v[64:65], v[28:29]
	v_mul_f64 v[28:29], v[62:63], v[28:29]
	s_waitcnt vmcnt(2) lgkmcnt(0)
	v_mul_f64 v[60:61], v[17:18], v[32:33]
	v_fma_f64 v[58:59], v[62:63], v[26:27], -v[58:59]
	v_fma_f64 v[28:29], v[64:65], v[26:27], v[28:29]
	v_mul_f64 v[26:27], v[15:16], v[32:33]
	s_waitcnt vmcnt(1)
	v_mul_f64 v[32:33], v[44:45], v[24:25]
	v_mul_f64 v[62:63], v[42:43], v[24:25]
	v_fma_f64 v[60:61], v[15:16], v[30:31], -v[60:61]
	v_fma_f64 v[30:31], v[17:18], v[30:31], v[26:27]
	ds_read_b128 v[15:18], v20 offset:19008
	ds_read_b128 v[24:27], v3
	s_waitcnt vmcnt(0) lgkmcnt(0)
	s_barrier
	buffer_gl0_inv
	v_fma_f64 v[32:33], v[42:43], v[22:23], -v[32:33]
	v_fma_f64 v[22:23], v[44:45], v[22:23], v[62:63]
	v_add_f64 v[42:43], v[46:47], v[66:67]
	v_add_f64 v[44:45], v[48:49], v[68:69]
	;; [unrolled: 1-line block ×3, first 2 shown]
	v_mul_f64 v[64:65], v[17:18], v[36:37]
	v_mul_f64 v[36:37], v[15:16], v[36:37]
	v_fma_f64 v[42:43], v[42:43], -0.5, v[54:55]
	v_fma_f64 v[44:45], v[44:45], -0.5, v[56:57]
	v_add_f64 v[54:55], v[56:57], v[48:49]
	v_add_f64 v[56:57], v[24:25], v[58:59]
	;; [unrolled: 1-line block ×3, first 2 shown]
	v_add_f64 v[48:49], v[48:49], -v[68:69]
	v_fma_f64 v[15:16], v[15:16], v[34:35], -v[64:65]
	v_fma_f64 v[17:18], v[17:18], v[34:35], v[36:37]
	v_add_f64 v[34:35], v[58:59], v[32:33]
	v_add_f64 v[36:37], v[28:29], v[22:23]
	;; [unrolled: 1-line block ×3, first 2 shown]
	v_add_f64 v[58:59], v[58:59], -v[32:33]
	v_add_f64 v[54:55], v[54:55], v[68:69]
	v_add_f64 v[68:69], v[40:41], v[60:61]
	v_add_f64 v[32:33], v[56:57], v[32:33]
	v_fma_f64 v[80:81], v[48:49], s[4:5], v[42:43]
	v_fma_f64 v[48:49], v[48:49], s[6:7], v[42:43]
	v_fma_f64 v[24:25], v[34:35], -0.5, v[24:25]
	v_fma_f64 v[34:35], v[36:37], -0.5, v[26:27]
	v_add_f64 v[36:37], v[46:47], -v[66:67]
	v_add_f64 v[46:47], v[76:77], v[52:53]
	v_add_f64 v[66:67], v[60:61], v[15:16]
	v_fma_f64 v[64:65], v[64:65], -0.5, v[76:77]
	v_add_f64 v[76:77], v[30:31], v[17:18]
	v_add_f64 v[52:53], v[52:53], -v[78:79]
	v_add_f64 v[60:61], v[60:61], -v[15:16]
	v_add_f64 v[26:27], v[26:27], v[28:29]
	v_add_f64 v[28:29], v[28:29], -v[22:23]
	v_add_f64 v[68:69], v[68:69], v[15:16]
	v_fma_f64 v[82:83], v[36:37], s[6:7], v[44:45]
	v_add_f64 v[46:47], v[46:47], v[78:79]
	v_fma_f64 v[40:41], v[66:67], -0.5, v[40:41]
	v_add_f64 v[66:67], v[30:31], -v[17:18]
	v_add_f64 v[30:31], v[38:39], v[30:31]
	v_fma_f64 v[38:39], v[76:77], -0.5, v[38:39]
	v_fma_f64 v[76:77], v[52:53], s[4:5], v[74:75]
	v_fma_f64 v[52:53], v[52:53], s[6:7], v[74:75]
	;; [unrolled: 1-line block ×4, first 2 shown]
	v_add_f64 v[56:57], v[26:27], v[22:23]
	v_fma_f64 v[84:85], v[36:37], s[4:5], v[44:45]
	v_fma_f64 v[64:65], v[66:67], s[4:5], v[40:41]
	;; [unrolled: 1-line block ×5, first 2 shown]
	v_mul_f64 v[72:73], v[76:77], s[6:7]
	v_mul_f64 v[60:61], v[74:75], s[4:5]
	v_add_f64 v[78:79], v[30:31], v[17:18]
	v_mul_f64 v[15:16], v[52:53], -0.5
	v_mul_f64 v[17:18], v[50:51], -0.5
	v_mul_f64 v[26:27], v[64:65], s[6:7]
	v_mul_f64 v[30:31], v[40:41], -0.5
	v_mul_f64 v[22:23], v[66:67], s[4:5]
	v_mul_f64 v[36:37], v[38:39], -0.5
	v_fma_f64 v[44:45], v[74:75], 0.5, v[72:73]
	v_fma_f64 v[42:43], v[76:77], 0.5, v[60:61]
	v_fma_f64 v[60:61], v[28:29], s[4:5], v[24:25]
	v_fma_f64 v[50:51], v[50:51], s[4:5], v[15:16]
	;; [unrolled: 1-line block ×6, first 2 shown]
	v_add_f64 v[15:16], v[62:63], v[70:71]
	v_add_f64 v[17:18], v[54:55], v[46:47]
	v_add_f64 v[24:25], v[54:55], -v[46:47]
	v_add_f64 v[28:29], v[56:57], v[78:79]
	v_fma_f64 v[66:67], v[66:67], 0.5, v[26:27]
	v_fma_f64 v[86:87], v[38:39], s[4:5], v[30:31]
	v_fma_f64 v[64:65], v[64:65], 0.5, v[22:23]
	v_fma_f64 v[88:89], v[40:41], s[6:7], v[36:37]
	v_add_f64 v[22:23], v[62:63], -v[70:71]
	v_add_f64 v[34:35], v[80:81], v[42:43]
	v_add_f64 v[36:37], v[82:83], v[44:45]
	v_add_f64 v[38:39], v[80:81], -v[42:43]
	v_add_f64 v[40:41], v[82:83], -v[44:45]
	v_add_f64 v[42:43], v[48:49], v[50:51]
	v_add_f64 v[44:45], v[84:85], v[52:53]
	v_add_f64 v[46:47], v[48:49], -v[50:51]
	v_add_f64 v[48:49], v[84:85], -v[52:53]
	v_add_f64 v[26:27], v[32:33], v[68:69]
	v_add_f64 v[30:31], v[32:33], -v[68:69]
	v_add_f64 v[32:33], v[56:57], -v[78:79]
	v_add_f64 v[52:53], v[74:75], v[66:67]
	v_add_f64 v[58:59], v[72:73], v[86:87]
	;; [unrolled: 1-line block ×3, first 2 shown]
	v_add_f64 v[54:55], v[60:61], -v[64:65]
	v_add_f64 v[60:61], v[76:77], v[88:89]
	v_add_f64 v[56:57], v[74:75], -v[66:67]
	v_add_f64 v[62:63], v[72:73], -v[86:87]
	v_add_f64 v[64:65], v[76:77], -v[88:89]
	ds_write_b128 v4, v[15:18]
	ds_write_b128 v4, v[22:25] offset:1728
	ds_write_b128 v4, v[34:37] offset:576
	;; [unrolled: 1-line block ×5, first 2 shown]
	ds_write_b128 v5, v[26:29]
	ds_write_b128 v5, v[50:53] offset:576
	ds_write_b128 v5, v[58:61] offset:1152
	;; [unrolled: 1-line block ×5, first 2 shown]
	s_waitcnt lgkmcnt(0)
	s_barrier
	buffer_gl0_inv
	global_load_dwordx4 v[4:7], v[1:2], off offset:1312
	v_add_co_u32 v26, s0, 0xd20, v19
	v_add_co_ci_u32_e64 v27, s0, 0, v90, s0
	s_clause 0x3
	global_load_dwordx4 v[15:18], v[26:27], off offset:16
	global_load_dwordx4 v[22:25], v[26:27], off offset:32
	;; [unrolled: 1-line block ×4, first 2 shown]
	ds_read_b128 v[34:37], v20 offset:3456
	ds_read_b128 v[38:41], v20 offset:6912
	v_mov_b32_e32 v2, 0
	v_mul_i32_i24_e32 v1, 5, v14
	ds_read_b128 v[42:45], v20 offset:10368
	ds_read_b128 v[46:49], v20
	v_lshlrev_b64 v[50:51], 4, v[1:2]
	v_add_co_u32 v1, s0, s12, v50
	v_add_co_ci_u32_e64 v11, s0, s13, v51, s0
	ds_read_b128 v[50:53], v20 offset:5184
	v_add_co_u32 v64, s0, 0x800, v1
	v_add_co_ci_u32_e64 v65, s0, 0, v11, s0
	ds_read_b128 v[54:57], v20 offset:13824
	ds_read_b128 v[58:61], v20 offset:8640
	v_add_co_u32 v72, s0, 0xd20, v1
	v_add_co_ci_u32_e64 v73, s0, 0, v11, s0
	s_waitcnt vmcnt(4) lgkmcnt(6)
	v_mul_f64 v[62:63], v[36:37], v[6:7]
	v_mul_f64 v[6:7], v[34:35], v[6:7]
	s_waitcnt vmcnt(3) lgkmcnt(5)
	v_mul_f64 v[66:67], v[40:41], v[17:18]
	s_waitcnt vmcnt(2) lgkmcnt(4)
	v_mul_f64 v[68:69], v[44:45], v[24:25]
	v_mul_f64 v[24:25], v[42:43], v[24:25]
	s_waitcnt vmcnt(1) lgkmcnt(1)
	v_mul_f64 v[76:77], v[56:57], v[28:29]
	v_mul_f64 v[28:29], v[54:55], v[28:29]
	;; [unrolled: 1-line block ×3, first 2 shown]
	v_fma_f64 v[62:63], v[34:35], v[4:5], -v[62:63]
	v_fma_f64 v[70:71], v[36:37], v[4:5], v[6:7]
	global_load_dwordx4 v[4:7], v[64:65], off offset:1312
	ds_read_b128 v[34:37], v20 offset:17280
	v_fma_f64 v[66:67], v[38:39], v[15:16], -v[66:67]
	v_fma_f64 v[68:69], v[42:43], v[22:23], -v[68:69]
	v_fma_f64 v[78:79], v[44:45], v[22:23], v[24:25]
	s_clause 0x1
	global_load_dwordx4 v[22:25], v[72:73], off offset:16
	global_load_dwordx4 v[42:45], v[72:73], off offset:32
	v_fma_f64 v[54:55], v[54:55], v[26:27], -v[76:77]
	v_fma_f64 v[56:57], v[56:57], v[26:27], v[28:29]
	global_load_dwordx4 v[26:29], v[72:73], off offset:48
	v_fma_f64 v[74:75], v[40:41], v[15:16], v[17:18]
	ds_read_b128 v[15:18], v20 offset:12096
	ds_read_b128 v[38:41], v20 offset:15552
	s_waitcnt vmcnt(4) lgkmcnt(2)
	v_mul_f64 v[80:81], v[36:37], v[32:33]
	v_mul_f64 v[32:33], v[34:35], v[32:33]
	v_add_f64 v[76:77], v[48:49], v[74:75]
	v_fma_f64 v[34:35], v[34:35], v[30:31], -v[80:81]
	v_fma_f64 v[36:37], v[36:37], v[30:31], v[32:33]
	global_load_dwordx4 v[30:33], v[64:65], off offset:1376
	s_waitcnt vmcnt(4)
	v_mul_f64 v[64:65], v[52:53], v[6:7]
	v_mul_f64 v[6:7], v[50:51], v[6:7]
	s_waitcnt vmcnt(3)
	v_mul_f64 v[72:73], v[60:61], v[24:25]
	v_fma_f64 v[50:51], v[50:51], v[4:5], -v[64:65]
	v_fma_f64 v[52:53], v[52:53], v[4:5], v[6:7]
	v_mul_f64 v[4:5], v[58:59], v[24:25]
	s_waitcnt vmcnt(1) lgkmcnt(0)
	v_mul_f64 v[64:65], v[40:41], v[28:29]
	v_mul_f64 v[28:29], v[38:39], v[28:29]
	v_fma_f64 v[58:59], v[58:59], v[22:23], -v[72:73]
	v_mul_f64 v[72:73], v[17:18], v[44:45]
	v_fma_f64 v[60:61], v[60:61], v[22:23], v[4:5]
	ds_read_b128 v[4:7], v20 offset:19008
	ds_read_b128 v[22:25], v3
	v_fma_f64 v[38:39], v[38:39], v[26:27], -v[64:65]
	v_fma_f64 v[26:27], v[40:41], v[26:27], v[28:29]
	v_mul_f64 v[40:41], v[15:16], v[44:45]
	v_fma_f64 v[15:16], v[15:16], v[42:43], -v[72:73]
	v_add_f64 v[64:65], v[68:69], v[34:35]
	v_add_f64 v[72:73], v[46:47], v[66:67]
	s_waitcnt vmcnt(0) lgkmcnt(0)
	s_barrier
	buffer_gl0_inv
	v_mul_f64 v[28:29], v[6:7], v[32:33]
	v_mul_f64 v[32:33], v[4:5], v[32:33]
	v_add_f64 v[44:45], v[60:61], v[26:27]
	v_fma_f64 v[17:18], v[17:18], v[42:43], v[40:41]
	v_add_f64 v[40:41], v[74:75], v[56:57]
	v_add_f64 v[42:43], v[58:59], v[38:39]
	v_fma_f64 v[4:5], v[4:5], v[30:31], -v[28:29]
	v_add_f64 v[28:29], v[66:67], v[54:55]
	v_fma_f64 v[6:7], v[6:7], v[30:31], v[32:33]
	v_add_f64 v[30:31], v[78:79], v[36:37]
	v_add_f64 v[66:67], v[66:67], -v[54:55]
	v_add_f64 v[54:55], v[72:73], v[54:55]
	v_fma_f64 v[40:41], v[40:41], -0.5, v[48:49]
	v_add_f64 v[48:49], v[24:25], v[60:61]
	v_fma_f64 v[24:25], v[44:45], -0.5, v[24:25]
	v_add_f64 v[44:45], v[78:79], -v[36:37]
	v_add_f64 v[32:33], v[15:16], v[4:5]
	v_fma_f64 v[28:29], v[28:29], -0.5, v[46:47]
	v_add_f64 v[46:47], v[22:23], v[58:59]
	v_fma_f64 v[22:23], v[42:43], -0.5, v[22:23]
	;; [unrolled: 2-line block ×3, first 2 shown]
	v_add_f64 v[64:65], v[68:69], -v[34:35]
	v_fma_f64 v[30:31], v[30:31], -0.5, v[70:71]
	v_add_f64 v[68:69], v[17:18], -v[6:7]
	v_add_f64 v[70:71], v[70:71], v[78:79]
	v_add_f64 v[58:59], v[58:59], -v[38:39]
	v_fma_f64 v[84:85], v[66:67], s[6:7], v[40:41]
	v_fma_f64 v[66:67], v[66:67], s[4:5], v[40:41]
	v_fma_f64 v[32:33], v[32:33], -0.5, v[50:51]
	v_add_f64 v[50:51], v[50:51], v[15:16]
	v_add_f64 v[15:16], v[15:16], -v[4:5]
	v_add_f64 v[38:39], v[46:47], v[38:39]
	v_add_f64 v[34:35], v[42:43], v[34:35]
	v_fma_f64 v[78:79], v[44:45], s[4:5], v[62:63]
	v_fma_f64 v[44:45], v[44:45], s[6:7], v[62:63]
	;; [unrolled: 1-line block ×4, first 2 shown]
	v_add_f64 v[36:37], v[70:71], v[36:37]
	v_add_f64 v[46:47], v[48:49], v[26:27]
	v_fma_f64 v[64:65], v[68:69], s[4:5], v[32:33]
	v_fma_f64 v[32:33], v[68:69], s[6:7], v[32:33]
	v_add_f64 v[68:69], v[17:18], v[6:7]
	v_add_f64 v[17:18], v[52:53], v[17:18]
	;; [unrolled: 1-line block ×3, first 2 shown]
	v_mul_f64 v[72:73], v[78:79], s[6:7]
	v_mul_f64 v[42:43], v[44:45], -0.5
	v_mul_f64 v[70:71], v[30:31], -0.5
	v_mul_f64 v[48:49], v[64:65], s[6:7]
	v_mul_f64 v[4:5], v[32:33], -0.5
	v_fma_f64 v[68:69], v[68:69], -0.5, v[52:53]
	v_add_f64 v[52:53], v[60:61], -v[26:27]
	v_mul_f64 v[60:61], v[62:63], s[4:5]
	v_fma_f64 v[62:63], v[62:63], 0.5, v[72:73]
	v_fma_f64 v[42:43], v[30:31], s[4:5], v[42:43]
	v_fma_f64 v[44:45], v[44:45], s[6:7], v[70:71]
	v_fma_f64 v[80:81], v[15:16], s[6:7], v[68:69]
	v_fma_f64 v[15:16], v[15:16], s[4:5], v[68:69]
	v_add_f64 v[68:69], v[74:75], -v[56:57]
	v_add_f64 v[56:57], v[76:77], v[56:57]
	v_fma_f64 v[60:61], v[78:79], 0.5, v[60:61]
	v_add_f64 v[76:77], v[17:18], v[6:7]
	v_fma_f64 v[72:73], v[52:53], s[4:5], v[22:23]
	v_fma_f64 v[70:71], v[52:53], s[6:7], v[22:23]
	v_fma_f64 v[52:53], v[58:59], s[6:7], v[24:25]
	v_add_f64 v[22:23], v[38:39], v[50:51]
	v_add_f64 v[40:41], v[66:67], v[44:45]
	v_add_f64 v[44:45], v[66:67], -v[44:45]
	v_mul_f64 v[26:27], v[80:81], s[4:5]
	v_mul_f64 v[74:75], v[15:16], -0.5
	v_fma_f64 v[82:83], v[68:69], s[4:5], v[28:29]
	v_fma_f64 v[68:69], v[68:69], s[6:7], v[28:29]
	v_fma_f64 v[78:79], v[80:81], 0.5, v[48:49]
	v_fma_f64 v[80:81], v[58:59], s[4:5], v[24:25]
	v_fma_f64 v[58:59], v[15:16], s[4:5], v[4:5]
	v_add_f64 v[4:5], v[54:55], v[34:35]
	v_add_f64 v[6:7], v[56:57], v[36:37]
	v_add_f64 v[15:16], v[54:55], -v[34:35]
	v_add_f64 v[17:18], v[56:57], -v[36:37]
	;; [unrolled: 1-line block ×3, first 2 shown]
	v_add_f64 v[24:25], v[46:47], v[76:77]
	v_add_f64 v[28:29], v[46:47], -v[76:77]
	s_addc_u32 s4, s13, 0
	s_mov_b32 s5, exec_lo
	v_fma_f64 v[64:65], v[64:65], 0.5, v[26:27]
	v_fma_f64 v[74:75], v[32:33], s[6:7], v[74:75]
	v_add_f64 v[30:31], v[82:83], v[60:61]
	v_add_f64 v[32:33], v[84:85], v[62:63]
	v_add_f64 v[26:27], v[38:39], -v[50:51]
	v_add_f64 v[38:39], v[68:69], v[42:43]
	v_add_f64 v[34:35], v[82:83], -v[60:61]
	v_add_f64 v[42:43], v[68:69], -v[42:43]
	v_add_f64 v[48:49], v[52:53], v[78:79]
	v_add_f64 v[54:55], v[70:71], v[58:59]
	v_add_f64 v[52:53], v[52:53], -v[78:79]
	v_add_f64 v[58:59], v[70:71], -v[58:59]
	v_add_f64 v[46:47], v[72:73], v[64:65]
	v_add_f64 v[56:57], v[80:81], v[74:75]
	v_add_f64 v[50:51], v[72:73], -v[64:65]
	v_add_f64 v[60:61], v[80:81], -v[74:75]
	ds_write_b128 v20, v[4:7]
	ds_write_b128 v20, v[15:18] offset:10368
	ds_write_b128 v20, v[30:33] offset:3456
	;; [unrolled: 1-line block ×5, first 2 shown]
	ds_write_b128 v3, v[22:25]
	ds_write_b128 v3, v[46:49] offset:3456
	ds_write_b128 v3, v[54:57] offset:6912
	;; [unrolled: 1-line block ×5, first 2 shown]
	s_waitcnt lgkmcnt(0)
	s_barrier
	buffer_gl0_inv
	ds_read_b128 v[4:7], v20
	v_sub_nc_u32_e32 v22, 0, v0
                                        ; implicit-def: $vgpr0_vgpr1
                                        ; implicit-def: $vgpr16_vgpr17
                                        ; implicit-def: $vgpr18_vgpr19
	v_cmpx_ne_u32_e32 0, v10
	s_xor_b32 s5, exec_lo, s5
	s_cbranch_execz .LBB0_15
; %bb.14:
	v_mov_b32_e32 v11, v2
	v_lshlrev_b64 v[0:1], 4, v[10:11]
	v_add_co_u32 v0, s0, s1, v0
	v_add_co_ci_u32_e64 v1, s0, s4, v1, s0
	global_load_dwordx4 v[23:26], v[0:1], off
	ds_read_b128 v[0:3], v22 offset:20736
	s_waitcnt lgkmcnt(0)
	v_add_f64 v[15:16], v[4:5], -v[0:1]
	v_add_f64 v[17:18], v[6:7], v[2:3]
	v_add_f64 v[2:3], v[6:7], -v[2:3]
	v_add_f64 v[0:1], v[4:5], v[0:1]
	v_mul_f64 v[6:7], v[15:16], 0.5
	v_mul_f64 v[4:5], v[17:18], 0.5
	;; [unrolled: 1-line block ×3, first 2 shown]
	s_waitcnt vmcnt(0)
	v_mul_f64 v[15:16], v[6:7], v[25:26]
	v_fma_f64 v[17:18], v[4:5], v[25:26], v[2:3]
	v_fma_f64 v[2:3], v[4:5], v[25:26], -v[2:3]
	v_fma_f64 v[27:28], v[0:1], 0.5, v[15:16]
	v_fma_f64 v[0:1], v[0:1], 0.5, -v[15:16]
	v_fma_f64 v[18:19], -v[23:24], v[6:7], v[17:18]
	v_fma_f64 v[2:3], -v[23:24], v[6:7], v[2:3]
	v_fma_f64 v[16:17], v[4:5], v[23:24], v[27:28]
	v_fma_f64 v[0:1], -v[4:5], v[23:24], v[0:1]
                                        ; implicit-def: $vgpr4_vgpr5
.LBB0_15:
	s_or_saveexec_b32 s0, s5
	v_mul_i32_i24_e32 v11, 0xffffffb0, v14
	s_xor_b32 exec_lo, exec_lo, s0
	s_cbranch_execz .LBB0_17
; %bb.16:
	v_mov_b32_e32 v15, 0
	s_waitcnt lgkmcnt(0)
	v_add_f64 v[16:17], v[4:5], v[6:7]
	v_add_f64 v[0:1], v[4:5], -v[6:7]
	v_mov_b32_e32 v18, 0
	v_mov_b32_e32 v19, 0
	ds_read_b64 v[23:24], v15 offset:10376
	v_mov_b32_e32 v2, v18
	v_mov_b32_e32 v3, v19
	s_waitcnt lgkmcnt(0)
	v_xor_b32_e32 v24, 0x80000000, v24
	ds_write_b64 v15, v[23:24] offset:10376
.LBB0_17:
	s_or_b32 exec_lo, exec_lo, s0
	v_mov_b32_e32 v15, 0
	v_add_nc_u32_e32 v11, v21, v11
	ds_write2_b64 v20, v[16:17], v[18:19] offset1:1
	ds_write_b128 v22, v[0:3] offset:20736
	s_waitcnt lgkmcnt(2)
	v_lshlrev_b64 v[4:5], 4, v[14:15]
	v_add_nc_u32_e32 v14, 0xd8, v10
	v_lshlrev_b64 v[23:24], 4, v[14:15]
	v_add_co_u32 v4, s0, s1, v4
	v_add_co_ci_u32_e64 v5, s0, s4, v5, s0
	v_add_nc_u32_e32 v14, 0x144, v10
	v_add_co_u32 v23, s0, s1, v23
	global_load_dwordx4 v[4:7], v[4:5], off
	v_add_co_ci_u32_e64 v24, s0, s4, v24, s0
	v_lshlrev_b64 v[27:28], 4, v[14:15]
	v_add_nc_u32_e32 v14, 0x1b0, v10
	global_load_dwordx4 v[23:26], v[23:24], off
	ds_read_b128 v[0:3], v11
	ds_read_b128 v[16:19], v22 offset:19008
	v_add_co_u32 v27, s0, s1, v27
	v_add_co_ci_u32_e64 v28, s0, s4, v28, s0
	global_load_dwordx4 v[27:30], v[27:28], off
	s_waitcnt lgkmcnt(0)
	v_add_f64 v[31:32], v[0:1], -v[16:17]
	v_add_f64 v[33:34], v[2:3], v[18:19]
	v_add_f64 v[2:3], v[2:3], -v[18:19]
	v_add_f64 v[0:1], v[0:1], v[16:17]
	v_mul_f64 v[18:19], v[31:32], 0.5
	v_mul_f64 v[31:32], v[33:34], 0.5
	;; [unrolled: 1-line block ×3, first 2 shown]
	s_waitcnt vmcnt(2)
	v_mul_f64 v[16:17], v[18:19], v[6:7]
	v_fma_f64 v[33:34], v[31:32], v[6:7], v[2:3]
	v_fma_f64 v[2:3], v[31:32], v[6:7], -v[2:3]
	v_fma_f64 v[6:7], v[0:1], 0.5, v[16:17]
	v_fma_f64 v[0:1], v[0:1], 0.5, -v[16:17]
	v_fma_f64 v[16:17], -v[4:5], v[18:19], v[33:34]
	v_fma_f64 v[2:3], -v[4:5], v[18:19], v[2:3]
	v_lshlrev_b64 v[18:19], 4, v[14:15]
	v_add_nc_u32_e32 v14, 0x21c, v10
	v_fma_f64 v[6:7], v[31:32], v[4:5], v[6:7]
	v_fma_f64 v[0:1], -v[31:32], v[4:5], v[0:1]
	ds_write_b64 v11, v[16:17] offset:8
	ds_write_b64 v22, v[2:3] offset:19016
	ds_write_b64 v11, v[6:7]
	ds_write_b64 v22, v[0:1] offset:19008
	v_add_co_u32 v16, s0, s1, v18
	ds_read_b128 v[0:3], v20 offset:3456
	ds_read_b128 v[4:7], v22 offset:17280
	v_add_co_ci_u32_e64 v17, s0, s4, v19, s0
	v_add_nc_u32_e32 v11, 0x800, v20
	global_load_dwordx4 v[16:19], v[16:17], off
	s_waitcnt lgkmcnt(0)
	v_add_f64 v[31:32], v[0:1], -v[4:5]
	v_add_f64 v[33:34], v[2:3], v[6:7]
	v_add_f64 v[2:3], v[2:3], -v[6:7]
	v_add_f64 v[0:1], v[0:1], v[4:5]
	v_mul_f64 v[6:7], v[31:32], 0.5
	v_mul_f64 v[31:32], v[33:34], 0.5
	;; [unrolled: 1-line block ×3, first 2 shown]
	s_waitcnt vmcnt(2)
	v_mul_f64 v[4:5], v[6:7], v[25:26]
	v_fma_f64 v[33:34], v[31:32], v[25:26], v[2:3]
	v_fma_f64 v[2:3], v[31:32], v[25:26], -v[2:3]
	v_fma_f64 v[25:26], v[0:1], 0.5, v[4:5]
	v_fma_f64 v[0:1], v[0:1], 0.5, -v[4:5]
	v_fma_f64 v[4:5], -v[23:24], v[6:7], v[33:34]
	v_fma_f64 v[2:3], -v[23:24], v[6:7], v[2:3]
	v_fma_f64 v[6:7], v[31:32], v[23:24], v[25:26]
	v_fma_f64 v[0:1], -v[31:32], v[23:24], v[0:1]
	v_lshlrev_b64 v[23:24], 4, v[14:15]
	ds_write2_b64 v11, v[6:7], v[4:5] offset0:176 offset1:177
	ds_write_b128 v22, v[0:3] offset:17280
	v_add_co_u32 v23, s0, s1, v23
	ds_read_b128 v[0:3], v20 offset:5184
	ds_read_b128 v[4:7], v22 offset:15552
	v_add_co_ci_u32_e64 v24, s0, s4, v24, s0
	v_add_nc_u32_e32 v11, 0x1000, v20
	global_load_dwordx4 v[23:26], v[23:24], off
	s_waitcnt lgkmcnt(0)
	v_add_f64 v[31:32], v[0:1], -v[4:5]
	v_add_f64 v[33:34], v[2:3], v[6:7]
	v_add_f64 v[2:3], v[2:3], -v[6:7]
	v_add_f64 v[0:1], v[0:1], v[4:5]
	v_mul_f64 v[6:7], v[31:32], 0.5
	v_mul_f64 v[31:32], v[33:34], 0.5
	;; [unrolled: 1-line block ×3, first 2 shown]
	s_waitcnt vmcnt(2)
	v_mul_f64 v[4:5], v[6:7], v[29:30]
	v_fma_f64 v[33:34], v[31:32], v[29:30], v[2:3]
	v_fma_f64 v[2:3], v[31:32], v[29:30], -v[2:3]
	v_fma_f64 v[29:30], v[0:1], 0.5, v[4:5]
	v_fma_f64 v[0:1], v[0:1], 0.5, -v[4:5]
	v_fma_f64 v[4:5], -v[27:28], v[6:7], v[33:34]
	v_fma_f64 v[2:3], -v[27:28], v[6:7], v[2:3]
	v_fma_f64 v[6:7], v[31:32], v[27:28], v[29:30]
	v_fma_f64 v[0:1], -v[31:32], v[27:28], v[0:1]
	ds_write2_b64 v11, v[6:7], v[4:5] offset0:136 offset1:137
	ds_write_b128 v22, v[0:3] offset:15552
	ds_read_b128 v[0:3], v20 offset:6912
	ds_read_b128 v[4:7], v22 offset:13824
	v_add_nc_u32_e32 v11, 0x1800, v20
	s_waitcnt lgkmcnt(0)
	v_add_f64 v[27:28], v[0:1], -v[4:5]
	v_add_f64 v[29:30], v[2:3], v[6:7]
	v_add_f64 v[2:3], v[2:3], -v[6:7]
	v_add_f64 v[0:1], v[0:1], v[4:5]
	v_mul_f64 v[6:7], v[27:28], 0.5
	v_mul_f64 v[27:28], v[29:30], 0.5
	;; [unrolled: 1-line block ×3, first 2 shown]
	s_waitcnt vmcnt(1)
	v_mul_f64 v[4:5], v[6:7], v[18:19]
	v_fma_f64 v[29:30], v[27:28], v[18:19], v[2:3]
	v_fma_f64 v[2:3], v[27:28], v[18:19], -v[2:3]
	v_fma_f64 v[18:19], v[0:1], 0.5, v[4:5]
	v_fma_f64 v[0:1], v[0:1], 0.5, -v[4:5]
	v_fma_f64 v[4:5], -v[16:17], v[6:7], v[29:30]
	v_fma_f64 v[2:3], -v[16:17], v[6:7], v[2:3]
	v_fma_f64 v[6:7], v[27:28], v[16:17], v[18:19]
	v_fma_f64 v[0:1], -v[27:28], v[16:17], v[0:1]
	ds_write2_b64 v11, v[6:7], v[4:5] offset0:96 offset1:97
	ds_write_b128 v22, v[0:3] offset:13824
	ds_read_b128 v[0:3], v20 offset:8640
	ds_read_b128 v[4:7], v22 offset:12096
	v_add_nc_u32_e32 v11, 0x2000, v20
	s_waitcnt lgkmcnt(0)
	v_add_f64 v[16:17], v[0:1], -v[4:5]
	v_add_f64 v[18:19], v[2:3], v[6:7]
	v_add_f64 v[2:3], v[2:3], -v[6:7]
	v_add_f64 v[0:1], v[0:1], v[4:5]
	v_mul_f64 v[6:7], v[16:17], 0.5
	v_mul_f64 v[16:17], v[18:19], 0.5
	;; [unrolled: 1-line block ×3, first 2 shown]
	s_waitcnt vmcnt(0)
	v_mul_f64 v[4:5], v[6:7], v[25:26]
	v_fma_f64 v[18:19], v[16:17], v[25:26], v[2:3]
	v_fma_f64 v[2:3], v[16:17], v[25:26], -v[2:3]
	v_fma_f64 v[25:26], v[0:1], 0.5, v[4:5]
	v_fma_f64 v[0:1], v[0:1], 0.5, -v[4:5]
	v_fma_f64 v[4:5], -v[23:24], v[6:7], v[18:19]
	v_fma_f64 v[2:3], -v[23:24], v[6:7], v[2:3]
	v_fma_f64 v[6:7], v[16:17], v[23:24], v[25:26]
	v_fma_f64 v[0:1], -v[16:17], v[23:24], v[0:1]
	ds_write2_b64 v11, v[6:7], v[4:5] offset0:56 offset1:57
	ds_write_b128 v22, v[0:3] offset:12096
	s_waitcnt lgkmcnt(0)
	s_barrier
	buffer_gl0_inv
	s_and_saveexec_b32 s0, vcc_lo
	s_cbranch_execz .LBB0_20
; %bb.18:
	v_mul_lo_u32 v2, s3, v12
	v_mul_lo_u32 v3, s2, v13
	v_mad_u64_u32 v[0:1], null, s2, v12, 0
	v_mov_b32_e32 v11, v15
	v_lshlrev_b64 v[12:13], 4, v[8:9]
	v_lshl_add_u32 v32, v10, 4, 0
	v_add_nc_u32_e32 v14, 0x6c, v10
	v_lshlrev_b64 v[16:17], 4, v[10:11]
	v_add3_u32 v1, v1, v3, v2
	ds_read_b128 v[2:5], v32
	ds_read_b128 v[6:9], v32 offset:1728
	v_lshlrev_b64 v[24:25], 4, v[14:15]
	v_add_nc_u32_e32 v14, 0xd8, v10
	v_lshlrev_b64 v[0:1], 4, v[0:1]
	v_lshlrev_b64 v[26:27], 4, v[14:15]
	v_add_nc_u32_e32 v14, 0x144, v10
	v_add_co_u32 v0, vcc_lo, s10, v0
	v_add_co_ci_u32_e32 v1, vcc_lo, s11, v1, vcc_lo
	v_lshlrev_b64 v[28:29], 4, v[14:15]
	v_add_co_u32 v0, vcc_lo, v0, v12
	v_add_co_ci_u32_e32 v1, vcc_lo, v1, v13, vcc_lo
	v_add_nc_u32_e32 v14, 0x1b0, v10
	v_add_co_u32 v11, vcc_lo, v0, v16
	v_add_co_ci_u32_e32 v12, vcc_lo, v1, v17, vcc_lo
	ds_read_b128 v[16:19], v32 offset:3456
	ds_read_b128 v[20:23], v32 offset:5184
	v_add_co_u32 v24, vcc_lo, v0, v24
	v_add_co_ci_u32_e32 v25, vcc_lo, v1, v25, vcc_lo
	v_add_co_u32 v26, vcc_lo, v0, v26
	v_add_co_ci_u32_e32 v27, vcc_lo, v1, v27, vcc_lo
	;; [unrolled: 2-line block ×3, first 2 shown]
	v_lshlrev_b64 v[30:31], 4, v[14:15]
	v_add_nc_u32_e32 v14, 0x21c, v10
	s_waitcnt lgkmcnt(3)
	global_store_dwordx4 v[11:12], v[2:5], off
	s_waitcnt lgkmcnt(2)
	global_store_dwordx4 v[24:25], v[6:9], off
	;; [unrolled: 2-line block ×4, first 2 shown]
	ds_read_b128 v[2:5], v32 offset:6912
	ds_read_b128 v[6:9], v32 offset:8640
	v_lshlrev_b64 v[11:12], 4, v[14:15]
	v_add_nc_u32_e32 v14, 0x288, v10
	ds_read_b128 v[16:19], v32 offset:10368
	ds_read_b128 v[20:23], v32 offset:12096
	v_add_co_u32 v24, vcc_lo, v0, v30
	v_add_co_ci_u32_e32 v25, vcc_lo, v1, v31, vcc_lo
	v_lshlrev_b64 v[26:27], 4, v[14:15]
	v_add_nc_u32_e32 v14, 0x2f4, v10
	v_add_co_u32 v11, vcc_lo, v0, v11
	v_add_co_ci_u32_e32 v12, vcc_lo, v1, v12, vcc_lo
	v_lshlrev_b64 v[28:29], 4, v[14:15]
	v_add_nc_u32_e32 v14, 0x360, v10
	v_add_co_u32 v26, vcc_lo, v0, v26
	v_add_co_ci_u32_e32 v27, vcc_lo, v1, v27, vcc_lo
	s_waitcnt lgkmcnt(3)
	global_store_dwordx4 v[24:25], v[2:5], off
	v_lshlrev_b64 v[2:3], 4, v[14:15]
	v_add_nc_u32_e32 v14, 0x3cc, v10
	v_add_co_u32 v28, vcc_lo, v0, v28
	v_add_co_ci_u32_e32 v29, vcc_lo, v1, v29, vcc_lo
	v_lshlrev_b64 v[24:25], 4, v[14:15]
	v_add_nc_u32_e32 v14, 0x438, v10
	s_waitcnt lgkmcnt(2)
	global_store_dwordx4 v[11:12], v[6:9], off
	s_waitcnt lgkmcnt(1)
	global_store_dwordx4 v[26:27], v[16:19], off
	;; [unrolled: 2-line block ×3, first 2 shown]
	v_add_co_u32 v11, vcc_lo, v0, v2
	v_add_co_ci_u32_e32 v12, vcc_lo, v1, v3, vcc_lo
	ds_read_b128 v[2:5], v32 offset:13824
	ds_read_b128 v[6:9], v32 offset:15552
	;; [unrolled: 1-line block ×4, first 2 shown]
	v_lshlrev_b64 v[26:27], 4, v[14:15]
	v_add_nc_u32_e32 v14, 0x4a4, v10
	v_add_co_u32 v24, vcc_lo, v0, v24
	v_add_co_ci_u32_e32 v25, vcc_lo, v1, v25, vcc_lo
	v_lshlrev_b64 v[13:14], 4, v[14:15]
	v_add_co_u32 v26, vcc_lo, v0, v26
	v_add_co_ci_u32_e32 v27, vcc_lo, v1, v27, vcc_lo
	v_add_co_u32 v13, vcc_lo, v0, v13
	v_add_co_ci_u32_e32 v14, vcc_lo, v1, v14, vcc_lo
	v_cmp_eq_u32_e32 vcc_lo, 0x6b, v10
	s_waitcnt lgkmcnt(3)
	global_store_dwordx4 v[11:12], v[2:5], off
	s_waitcnt lgkmcnt(2)
	global_store_dwordx4 v[24:25], v[6:9], off
	;; [unrolled: 2-line block ×4, first 2 shown]
	s_and_b32 exec_lo, exec_lo, vcc_lo
	s_cbranch_execz .LBB0_20
; %bb.19:
	v_mov_b32_e32 v2, 0
	v_add_co_u32 v0, vcc_lo, 0x5000, v0
	v_add_co_ci_u32_e32 v1, vcc_lo, 0, v1, vcc_lo
	ds_read_b128 v[2:5], v2 offset:20736
	s_waitcnt lgkmcnt(0)
	global_store_dwordx4 v[0:1], v[2:5], off offset:256
.LBB0_20:
	s_endpgm
	.section	.rodata,"a",@progbits
	.p2align	6, 0x0
	.amdhsa_kernel fft_rtc_fwd_len1296_factors_6_6_6_6_wgs_108_tpt_108_halfLds_dp_op_CI_CI_unitstride_sbrr_R2C_dirReg
		.amdhsa_group_segment_fixed_size 0
		.amdhsa_private_segment_fixed_size 0
		.amdhsa_kernarg_size 104
		.amdhsa_user_sgpr_count 6
		.amdhsa_user_sgpr_private_segment_buffer 1
		.amdhsa_user_sgpr_dispatch_ptr 0
		.amdhsa_user_sgpr_queue_ptr 0
		.amdhsa_user_sgpr_kernarg_segment_ptr 1
		.amdhsa_user_sgpr_dispatch_id 0
		.amdhsa_user_sgpr_flat_scratch_init 0
		.amdhsa_user_sgpr_private_segment_size 0
		.amdhsa_wavefront_size32 1
		.amdhsa_uses_dynamic_stack 0
		.amdhsa_system_sgpr_private_segment_wavefront_offset 0
		.amdhsa_system_sgpr_workgroup_id_x 1
		.amdhsa_system_sgpr_workgroup_id_y 0
		.amdhsa_system_sgpr_workgroup_id_z 0
		.amdhsa_system_sgpr_workgroup_info 0
		.amdhsa_system_vgpr_workitem_id 0
		.amdhsa_next_free_vgpr 99
		.amdhsa_next_free_sgpr 27
		.amdhsa_reserve_vcc 1
		.amdhsa_reserve_flat_scratch 0
		.amdhsa_float_round_mode_32 0
		.amdhsa_float_round_mode_16_64 0
		.amdhsa_float_denorm_mode_32 3
		.amdhsa_float_denorm_mode_16_64 3
		.amdhsa_dx10_clamp 1
		.amdhsa_ieee_mode 1
		.amdhsa_fp16_overflow 0
		.amdhsa_workgroup_processor_mode 1
		.amdhsa_memory_ordered 1
		.amdhsa_forward_progress 0
		.amdhsa_shared_vgpr_count 0
		.amdhsa_exception_fp_ieee_invalid_op 0
		.amdhsa_exception_fp_denorm_src 0
		.amdhsa_exception_fp_ieee_div_zero 0
		.amdhsa_exception_fp_ieee_overflow 0
		.amdhsa_exception_fp_ieee_underflow 0
		.amdhsa_exception_fp_ieee_inexact 0
		.amdhsa_exception_int_div_zero 0
	.end_amdhsa_kernel
	.text
.Lfunc_end0:
	.size	fft_rtc_fwd_len1296_factors_6_6_6_6_wgs_108_tpt_108_halfLds_dp_op_CI_CI_unitstride_sbrr_R2C_dirReg, .Lfunc_end0-fft_rtc_fwd_len1296_factors_6_6_6_6_wgs_108_tpt_108_halfLds_dp_op_CI_CI_unitstride_sbrr_R2C_dirReg
                                        ; -- End function
	.section	.AMDGPU.csdata,"",@progbits
; Kernel info:
; codeLenInByte = 9792
; NumSgprs: 29
; NumVgprs: 99
; ScratchSize: 0
; MemoryBound: 0
; FloatMode: 240
; IeeeMode: 1
; LDSByteSize: 0 bytes/workgroup (compile time only)
; SGPRBlocks: 3
; VGPRBlocks: 12
; NumSGPRsForWavesPerEU: 29
; NumVGPRsForWavesPerEU: 99
; Occupancy: 9
; WaveLimiterHint : 1
; COMPUTE_PGM_RSRC2:SCRATCH_EN: 0
; COMPUTE_PGM_RSRC2:USER_SGPR: 6
; COMPUTE_PGM_RSRC2:TRAP_HANDLER: 0
; COMPUTE_PGM_RSRC2:TGID_X_EN: 1
; COMPUTE_PGM_RSRC2:TGID_Y_EN: 0
; COMPUTE_PGM_RSRC2:TGID_Z_EN: 0
; COMPUTE_PGM_RSRC2:TIDIG_COMP_CNT: 0
	.text
	.p2alignl 6, 3214868480
	.fill 48, 4, 3214868480
	.type	__hip_cuid_34814f9ffd85f892,@object ; @__hip_cuid_34814f9ffd85f892
	.section	.bss,"aw",@nobits
	.globl	__hip_cuid_34814f9ffd85f892
__hip_cuid_34814f9ffd85f892:
	.byte	0                               ; 0x0
	.size	__hip_cuid_34814f9ffd85f892, 1

	.ident	"AMD clang version 19.0.0git (https://github.com/RadeonOpenCompute/llvm-project roc-6.4.0 25133 c7fe45cf4b819c5991fe208aaa96edf142730f1d)"
	.section	".note.GNU-stack","",@progbits
	.addrsig
	.addrsig_sym __hip_cuid_34814f9ffd85f892
	.amdgpu_metadata
---
amdhsa.kernels:
  - .args:
      - .actual_access:  read_only
        .address_space:  global
        .offset:         0
        .size:           8
        .value_kind:     global_buffer
      - .offset:         8
        .size:           8
        .value_kind:     by_value
      - .actual_access:  read_only
        .address_space:  global
        .offset:         16
        .size:           8
        .value_kind:     global_buffer
      - .actual_access:  read_only
        .address_space:  global
        .offset:         24
        .size:           8
        .value_kind:     global_buffer
      - .actual_access:  read_only
        .address_space:  global
        .offset:         32
        .size:           8
        .value_kind:     global_buffer
      - .offset:         40
        .size:           8
        .value_kind:     by_value
      - .actual_access:  read_only
        .address_space:  global
        .offset:         48
        .size:           8
        .value_kind:     global_buffer
      - .actual_access:  read_only
        .address_space:  global
        .offset:         56
        .size:           8
        .value_kind:     global_buffer
      - .offset:         64
        .size:           4
        .value_kind:     by_value
      - .actual_access:  read_only
        .address_space:  global
        .offset:         72
        .size:           8
        .value_kind:     global_buffer
      - .actual_access:  read_only
        .address_space:  global
        .offset:         80
        .size:           8
        .value_kind:     global_buffer
      - .actual_access:  read_only
        .address_space:  global
        .offset:         88
        .size:           8
        .value_kind:     global_buffer
      - .actual_access:  write_only
        .address_space:  global
        .offset:         96
        .size:           8
        .value_kind:     global_buffer
    .group_segment_fixed_size: 0
    .kernarg_segment_align: 8
    .kernarg_segment_size: 104
    .language:       OpenCL C
    .language_version:
      - 2
      - 0
    .max_flat_workgroup_size: 108
    .name:           fft_rtc_fwd_len1296_factors_6_6_6_6_wgs_108_tpt_108_halfLds_dp_op_CI_CI_unitstride_sbrr_R2C_dirReg
    .private_segment_fixed_size: 0
    .sgpr_count:     29
    .sgpr_spill_count: 0
    .symbol:         fft_rtc_fwd_len1296_factors_6_6_6_6_wgs_108_tpt_108_halfLds_dp_op_CI_CI_unitstride_sbrr_R2C_dirReg.kd
    .uniform_work_group_size: 1
    .uses_dynamic_stack: false
    .vgpr_count:     99
    .vgpr_spill_count: 0
    .wavefront_size: 32
    .workgroup_processor_mode: 1
amdhsa.target:   amdgcn-amd-amdhsa--gfx1030
amdhsa.version:
  - 1
  - 2
...

	.end_amdgpu_metadata
